;; amdgpu-corpus repo=ggml-org/llama.cpp kind=compiled arch=gfx906 opt=O3
	.amdgcn_target "amdgcn-amd-amdhsa--gfx906"
	.amdhsa_code_object_version 6
	.section	.text._ZL13add_id_kernelPKfS0_PKiPfllmmmm,"axG",@progbits,_ZL13add_id_kernelPKfS0_PKiPfllmmmm,comdat
	.globl	_ZL13add_id_kernelPKfS0_PKiPfllmmmm ; -- Begin function _ZL13add_id_kernelPKfS0_PKiPfllmmmm
	.p2align	8
	.type	_ZL13add_id_kernelPKfS0_PKiPfllmmmm,@function
_ZL13add_id_kernelPKfS0_PKiPfllmmmm:    ; @_ZL13add_id_kernelPKfS0_PKiPfllmmmm
; %bb.0:
	s_load_dwordx16 s[8:23], s[4:5], 0x0
	v_mov_b32_e32 v1, 0
	s_waitcnt lgkmcnt(0)
	v_cmp_gt_i64_e32 vcc, s[16:17], v[0:1]
	s_and_saveexec_b64 s[2:3], vcc
	s_cbranch_execz .LBB0_3
; %bb.1:
	s_load_dwordx4 s[24:27], s[4:5], 0x40
	s_mov_b32 s0, s7
	s_mov_b32 s7, 0
	s_lshl_b64 s[2:3], s[6:7], 2
	s_add_u32 s1, s12, s2
	s_load_dword s5, s[4:5], 0x5c
	s_waitcnt lgkmcnt(0)
	s_mul_i32 s2, s27, s0
	s_mul_hi_u32 s4, s26, s0
	s_addc_u32 s3, s13, s3
	s_add_i32 s4, s4, s2
	s_mul_i32 s2, s26, s0
	s_add_u32 s2, s1, s2
	s_addc_u32 s3, s3, s4
	s_load_dword s1, s[2:3], 0x0
	s_lshl_b32 s4, s16, 2
	s_lshr_b64 s[2:3], s[16:17], 30
	s_mul_i32 s3, s2, s6
	s_mul_hi_u32 s12, s4, s6
	s_waitcnt lgkmcnt(0)
	s_ashr_i32 s7, s1, 31
	s_add_i32 s12, s12, s3
	s_mul_i32 s3, s4, s6
	s_add_u32 s3, s14, s3
	s_mul_i32 s2, s2, s0
	s_mul_hi_u32 s13, s4, s0
	s_mul_i32 s4, s4, s0
	s_addc_u32 s12, s15, s12
	s_add_i32 s2, s13, s2
	s_mul_i32 s13, s4, s19
	s_mul_hi_u32 s14, s4, s18
	s_mul_i32 s2, s2, s18
	s_add_i32 s13, s14, s13
	s_add_i32 s13, s13, s2
	s_mul_i32 s4, s4, s18
	s_add_u32 s2, s3, s4
	s_mul_i32 s3, s21, s6
	s_mul_hi_u32 s4, s20, s6
	s_addc_u32 s12, s12, s13
	s_add_i32 s4, s4, s3
	s_mul_i32 s3, s20, s6
	s_add_u32 s3, s8, s3
	s_mul_i32 s6, s23, s0
	s_mul_hi_u32 s8, s22, s0
	s_addc_u32 s4, s9, s4
	s_add_i32 s8, s8, s6
	s_mul_i32 s0, s22, s0
	s_add_u32 s3, s3, s0
	s_addc_u32 s8, s4, s8
	s_mul_i32 s0, s24, s7
	s_mul_hi_u32 s4, s24, s1
	s_add_i32 s0, s4, s0
	s_mul_i32 s4, s25, s1
	s_add_i32 s0, s0, s4
	s_mul_i32 s1, s24, s1
	s_add_u32 s4, s10, s1
	s_addc_u32 s7, s11, s0
	s_and_b32 s5, s5, 0xffff
	v_lshlrev_b32_e32 v2, 2, v0
	v_mov_b32_e32 v3, v1
	s_lshl_b32 s6, s5, 2
	s_mov_b64 s[0:1], 0
	v_mov_b32_e32 v4, s8
	v_mov_b32_e32 v5, s7
	;; [unrolled: 1-line block ×3, first 2 shown]
.LBB0_2:                                ; =>This Inner Loop Header: Depth=1
	v_add_co_u32_e32 v7, vcc, s3, v2
	v_addc_co_u32_e32 v8, vcc, v4, v3, vcc
	v_add_co_u32_e32 v9, vcc, s4, v2
	v_addc_co_u32_e32 v10, vcc, v5, v3, vcc
	global_load_dword v11, v[7:8], off
	global_load_dword v12, v[9:10], off
	v_add_co_u32_e32 v7, vcc, s2, v2
	v_addc_co_u32_e32 v8, vcc, v6, v3, vcc
	v_add_co_u32_e32 v0, vcc, s5, v0
	v_addc_co_u32_e32 v1, vcc, 0, v1, vcc
	;; [unrolled: 2-line block ×3, first 2 shown]
	v_cmp_le_i64_e32 vcc, s[16:17], v[0:1]
	s_or_b64 s[0:1], vcc, s[0:1]
	s_waitcnt vmcnt(0)
	v_add_f32_e32 v9, v11, v12
	global_store_dword v[7:8], v9, off
	s_andn2_b64 exec, exec, s[0:1]
	s_cbranch_execnz .LBB0_2
.LBB0_3:
	s_endpgm
	.section	.rodata,"a",@progbits
	.p2align	6, 0x0
	.amdhsa_kernel _ZL13add_id_kernelPKfS0_PKiPfllmmmm
		.amdhsa_group_segment_fixed_size 0
		.amdhsa_private_segment_fixed_size 0
		.amdhsa_kernarg_size 336
		.amdhsa_user_sgpr_count 6
		.amdhsa_user_sgpr_private_segment_buffer 1
		.amdhsa_user_sgpr_dispatch_ptr 0
		.amdhsa_user_sgpr_queue_ptr 0
		.amdhsa_user_sgpr_kernarg_segment_ptr 1
		.amdhsa_user_sgpr_dispatch_id 0
		.amdhsa_user_sgpr_flat_scratch_init 0
		.amdhsa_user_sgpr_private_segment_size 0
		.amdhsa_uses_dynamic_stack 0
		.amdhsa_system_sgpr_private_segment_wavefront_offset 0
		.amdhsa_system_sgpr_workgroup_id_x 1
		.amdhsa_system_sgpr_workgroup_id_y 1
		.amdhsa_system_sgpr_workgroup_id_z 0
		.amdhsa_system_sgpr_workgroup_info 0
		.amdhsa_system_vgpr_workitem_id 0
		.amdhsa_next_free_vgpr 13
		.amdhsa_next_free_sgpr 28
		.amdhsa_reserve_vcc 1
		.amdhsa_reserve_flat_scratch 0
		.amdhsa_float_round_mode_32 0
		.amdhsa_float_round_mode_16_64 0
		.amdhsa_float_denorm_mode_32 3
		.amdhsa_float_denorm_mode_16_64 3
		.amdhsa_dx10_clamp 1
		.amdhsa_ieee_mode 1
		.amdhsa_fp16_overflow 0
		.amdhsa_exception_fp_ieee_invalid_op 0
		.amdhsa_exception_fp_denorm_src 0
		.amdhsa_exception_fp_ieee_div_zero 0
		.amdhsa_exception_fp_ieee_overflow 0
		.amdhsa_exception_fp_ieee_underflow 0
		.amdhsa_exception_fp_ieee_inexact 0
		.amdhsa_exception_int_div_zero 0
	.end_amdhsa_kernel
	.section	.text._ZL13add_id_kernelPKfS0_PKiPfllmmmm,"axG",@progbits,_ZL13add_id_kernelPKfS0_PKiPfllmmmm,comdat
.Lfunc_end0:
	.size	_ZL13add_id_kernelPKfS0_PKiPfllmmmm, .Lfunc_end0-_ZL13add_id_kernelPKfS0_PKiPfllmmmm
                                        ; -- End function
	.set _ZL13add_id_kernelPKfS0_PKiPfllmmmm.num_vgpr, 13
	.set _ZL13add_id_kernelPKfS0_PKiPfllmmmm.num_agpr, 0
	.set _ZL13add_id_kernelPKfS0_PKiPfllmmmm.numbered_sgpr, 28
	.set _ZL13add_id_kernelPKfS0_PKiPfllmmmm.num_named_barrier, 0
	.set _ZL13add_id_kernelPKfS0_PKiPfllmmmm.private_seg_size, 0
	.set _ZL13add_id_kernelPKfS0_PKiPfllmmmm.uses_vcc, 1
	.set _ZL13add_id_kernelPKfS0_PKiPfllmmmm.uses_flat_scratch, 0
	.set _ZL13add_id_kernelPKfS0_PKiPfllmmmm.has_dyn_sized_stack, 0
	.set _ZL13add_id_kernelPKfS0_PKiPfllmmmm.has_recursion, 0
	.set _ZL13add_id_kernelPKfS0_PKiPfllmmmm.has_indirect_call, 0
	.section	.AMDGPU.csdata,"",@progbits
; Kernel info:
; codeLenInByte = 396
; TotalNumSgprs: 32
; NumVgprs: 13
; ScratchSize: 0
; MemoryBound: 0
; FloatMode: 240
; IeeeMode: 1
; LDSByteSize: 0 bytes/workgroup (compile time only)
; SGPRBlocks: 3
; VGPRBlocks: 3
; NumSGPRsForWavesPerEU: 32
; NumVGPRsForWavesPerEU: 13
; Occupancy: 10
; WaveLimiterHint : 1
; COMPUTE_PGM_RSRC2:SCRATCH_EN: 0
; COMPUTE_PGM_RSRC2:USER_SGPR: 6
; COMPUTE_PGM_RSRC2:TRAP_HANDLER: 0
; COMPUTE_PGM_RSRC2:TGID_X_EN: 1
; COMPUTE_PGM_RSRC2:TGID_Y_EN: 1
; COMPUTE_PGM_RSRC2:TGID_Z_EN: 0
; COMPUTE_PGM_RSRC2:TIDIG_COMP_CNT: 0
	.section	.AMDGPU.gpr_maximums,"",@progbits
	.set amdgpu.max_num_vgpr, 0
	.set amdgpu.max_num_agpr, 0
	.set amdgpu.max_num_sgpr, 0
	.section	.AMDGPU.csdata,"",@progbits
	.type	__hip_cuid_47ae5f08e611109b,@object ; @__hip_cuid_47ae5f08e611109b
	.section	.bss,"aw",@nobits
	.globl	__hip_cuid_47ae5f08e611109b
__hip_cuid_47ae5f08e611109b:
	.byte	0                               ; 0x0
	.size	__hip_cuid_47ae5f08e611109b, 1

	.ident	"AMD clang version 22.0.0git (https://github.com/RadeonOpenCompute/llvm-project roc-7.2.4 26084 f58b06dce1f9c15707c5f808fd002e18c2accf7e)"
	.section	".note.GNU-stack","",@progbits
	.addrsig
	.addrsig_sym __hip_cuid_47ae5f08e611109b
	.amdgpu_metadata
---
amdhsa.kernels:
  - .args:
      - .address_space:  global
        .offset:         0
        .size:           8
        .value_kind:     global_buffer
      - .address_space:  global
        .offset:         8
        .size:           8
        .value_kind:     global_buffer
      - .address_space:  global
        .offset:         16
        .size:           8
        .value_kind:     global_buffer
      - .address_space:  global
        .offset:         24
        .size:           8
        .value_kind:     global_buffer
      - .offset:         32
        .size:           8
        .value_kind:     by_value
      - .offset:         40
        .size:           8
        .value_kind:     by_value
      - .offset:         48
        .size:           8
        .value_kind:     by_value
      - .offset:         56
        .size:           8
        .value_kind:     by_value
      - .offset:         64
        .size:           8
        .value_kind:     by_value
      - .offset:         72
        .size:           8
        .value_kind:     by_value
      - .offset:         80
        .size:           4
        .value_kind:     hidden_block_count_x
      - .offset:         84
        .size:           4
        .value_kind:     hidden_block_count_y
      - .offset:         88
        .size:           4
        .value_kind:     hidden_block_count_z
      - .offset:         92
        .size:           2
        .value_kind:     hidden_group_size_x
      - .offset:         94
        .size:           2
        .value_kind:     hidden_group_size_y
      - .offset:         96
        .size:           2
        .value_kind:     hidden_group_size_z
      - .offset:         98
        .size:           2
        .value_kind:     hidden_remainder_x
      - .offset:         100
        .size:           2
        .value_kind:     hidden_remainder_y
      - .offset:         102
        .size:           2
        .value_kind:     hidden_remainder_z
      - .offset:         120
        .size:           8
        .value_kind:     hidden_global_offset_x
      - .offset:         128
        .size:           8
        .value_kind:     hidden_global_offset_y
      - .offset:         136
        .size:           8
        .value_kind:     hidden_global_offset_z
      - .offset:         144
        .size:           2
        .value_kind:     hidden_grid_dims
    .group_segment_fixed_size: 0
    .kernarg_segment_align: 8
    .kernarg_segment_size: 336
    .language:       OpenCL C
    .language_version:
      - 2
      - 0
    .max_flat_workgroup_size: 1024
    .name:           _ZL13add_id_kernelPKfS0_PKiPfllmmmm
    .private_segment_fixed_size: 0
    .sgpr_count:     32
    .sgpr_spill_count: 0
    .symbol:         _ZL13add_id_kernelPKfS0_PKiPfllmmmm.kd
    .uniform_work_group_size: 1
    .uses_dynamic_stack: false
    .vgpr_count:     13
    .vgpr_spill_count: 0
    .wavefront_size: 64
amdhsa.target:   amdgcn-amd-amdhsa--gfx906
amdhsa.version:
  - 1
  - 2
...

	.end_amdgpu_metadata
